;; amdgpu-corpus repo=ROCm/rocFFT kind=compiled arch=gfx906 opt=O3
	.text
	.amdgcn_target "amdgcn-amd-amdhsa--gfx906"
	.amdhsa_code_object_version 6
	.protected	fft_rtc_fwd_len528_factors_4_4_3_11_wgs_48_tpt_48_halfLds_half_op_CI_CI_unitstride_sbrr_R2C_dirReg ; -- Begin function fft_rtc_fwd_len528_factors_4_4_3_11_wgs_48_tpt_48_halfLds_half_op_CI_CI_unitstride_sbrr_R2C_dirReg
	.globl	fft_rtc_fwd_len528_factors_4_4_3_11_wgs_48_tpt_48_halfLds_half_op_CI_CI_unitstride_sbrr_R2C_dirReg
	.p2align	8
	.type	fft_rtc_fwd_len528_factors_4_4_3_11_wgs_48_tpt_48_halfLds_half_op_CI_CI_unitstride_sbrr_R2C_dirReg,@function
fft_rtc_fwd_len528_factors_4_4_3_11_wgs_48_tpt_48_halfLds_half_op_CI_CI_unitstride_sbrr_R2C_dirReg: ; @fft_rtc_fwd_len528_factors_4_4_3_11_wgs_48_tpt_48_halfLds_half_op_CI_CI_unitstride_sbrr_R2C_dirReg
; %bb.0:
	s_load_dwordx4 s[8:11], s[4:5], 0x58
	s_load_dwordx4 s[12:15], s[4:5], 0x0
	;; [unrolled: 1-line block ×3, first 2 shown]
	v_mul_u32_u24_e32 v1, 0x556, v0
	v_mov_b32_e32 v5, 0
	v_mov_b32_e32 v10, 0
	s_waitcnt lgkmcnt(0)
	v_cmp_lt_u64_e64 s[0:1], s[14:15], 2
	v_add_u32_sdwa v7, s6, v1 dst_sel:DWORD dst_unused:UNUSED_PAD src0_sel:DWORD src1_sel:WORD_1
	v_mov_b32_e32 v8, v5
	s_and_b64 vcc, exec, s[0:1]
	v_mov_b32_e32 v11, 0
	s_cbranch_vccnz .LBB0_8
; %bb.1:
	s_load_dwordx2 s[0:1], s[4:5], 0x10
	s_add_u32 s2, s18, 8
	s_addc_u32 s3, s19, 0
	s_add_u32 s6, s16, 8
	s_addc_u32 s7, s17, 0
	v_mov_b32_e32 v10, 0
	s_waitcnt lgkmcnt(0)
	s_add_u32 s20, s0, 8
	v_mov_b32_e32 v11, 0
	v_mov_b32_e32 v1, v10
	s_addc_u32 s21, s1, 0
	s_mov_b64 s[22:23], 1
	v_mov_b32_e32 v2, v11
.LBB0_2:                                ; =>This Inner Loop Header: Depth=1
	s_load_dwordx2 s[24:25], s[20:21], 0x0
                                        ; implicit-def: $vgpr3_vgpr4
	s_waitcnt lgkmcnt(0)
	v_or_b32_e32 v6, s25, v8
	v_cmp_ne_u64_e32 vcc, 0, v[5:6]
	s_and_saveexec_b64 s[0:1], vcc
	s_xor_b64 s[26:27], exec, s[0:1]
	s_cbranch_execz .LBB0_4
; %bb.3:                                ;   in Loop: Header=BB0_2 Depth=1
	v_cvt_f32_u32_e32 v3, s24
	v_cvt_f32_u32_e32 v4, s25
	s_sub_u32 s0, 0, s24
	s_subb_u32 s1, 0, s25
	v_mac_f32_e32 v3, 0x4f800000, v4
	v_rcp_f32_e32 v3, v3
	v_mul_f32_e32 v3, 0x5f7ffffc, v3
	v_mul_f32_e32 v4, 0x2f800000, v3
	v_trunc_f32_e32 v4, v4
	v_mac_f32_e32 v3, 0xcf800000, v4
	v_cvt_u32_f32_e32 v4, v4
	v_cvt_u32_f32_e32 v3, v3
	v_mul_lo_u32 v6, s0, v4
	v_mul_hi_u32 v9, s0, v3
	v_mul_lo_u32 v13, s1, v3
	v_mul_lo_u32 v12, s0, v3
	v_add_u32_e32 v6, v9, v6
	v_add_u32_e32 v6, v6, v13
	v_mul_hi_u32 v9, v3, v12
	v_mul_lo_u32 v13, v3, v6
	v_mul_hi_u32 v15, v3, v6
	v_mul_hi_u32 v14, v4, v12
	v_mul_lo_u32 v12, v4, v12
	v_mul_hi_u32 v16, v4, v6
	v_add_co_u32_e32 v9, vcc, v9, v13
	v_addc_co_u32_e32 v13, vcc, 0, v15, vcc
	v_mul_lo_u32 v6, v4, v6
	v_add_co_u32_e32 v9, vcc, v9, v12
	v_addc_co_u32_e32 v9, vcc, v13, v14, vcc
	v_addc_co_u32_e32 v12, vcc, 0, v16, vcc
	v_add_co_u32_e32 v6, vcc, v9, v6
	v_addc_co_u32_e32 v9, vcc, 0, v12, vcc
	v_add_co_u32_e32 v3, vcc, v3, v6
	v_addc_co_u32_e32 v4, vcc, v4, v9, vcc
	v_mul_lo_u32 v6, s0, v4
	v_mul_hi_u32 v9, s0, v3
	v_mul_lo_u32 v12, s1, v3
	v_mul_lo_u32 v13, s0, v3
	v_add_u32_e32 v6, v9, v6
	v_add_u32_e32 v6, v6, v12
	v_mul_lo_u32 v14, v3, v6
	v_mul_hi_u32 v15, v3, v13
	v_mul_hi_u32 v16, v3, v6
	v_mul_hi_u32 v12, v4, v13
	v_mul_lo_u32 v13, v4, v13
	v_mul_hi_u32 v9, v4, v6
	v_add_co_u32_e32 v14, vcc, v15, v14
	v_addc_co_u32_e32 v15, vcc, 0, v16, vcc
	v_mul_lo_u32 v6, v4, v6
	v_add_co_u32_e32 v13, vcc, v14, v13
	v_addc_co_u32_e32 v12, vcc, v15, v12, vcc
	v_addc_co_u32_e32 v9, vcc, 0, v9, vcc
	v_add_co_u32_e32 v6, vcc, v12, v6
	v_addc_co_u32_e32 v9, vcc, 0, v9, vcc
	v_add_co_u32_e32 v6, vcc, v3, v6
	v_addc_co_u32_e32 v9, vcc, v4, v9, vcc
	v_mad_u64_u32 v[3:4], s[0:1], v7, v9, 0
	v_mul_hi_u32 v12, v7, v6
	v_add_co_u32_e32 v14, vcc, v12, v3
	v_addc_co_u32_e32 v15, vcc, 0, v4, vcc
	v_mad_u64_u32 v[3:4], s[0:1], v8, v6, 0
	v_mad_u64_u32 v[12:13], s[0:1], v8, v9, 0
	v_add_co_u32_e32 v3, vcc, v14, v3
	v_addc_co_u32_e32 v3, vcc, v15, v4, vcc
	v_addc_co_u32_e32 v4, vcc, 0, v13, vcc
	v_add_co_u32_e32 v6, vcc, v3, v12
	v_addc_co_u32_e32 v9, vcc, 0, v4, vcc
	v_mul_lo_u32 v12, s25, v6
	v_mul_lo_u32 v13, s24, v9
	v_mad_u64_u32 v[3:4], s[0:1], s24, v6, 0
	v_add3_u32 v4, v4, v13, v12
	v_sub_u32_e32 v12, v8, v4
	v_mov_b32_e32 v13, s25
	v_sub_co_u32_e32 v3, vcc, v7, v3
	v_subb_co_u32_e64 v12, s[0:1], v12, v13, vcc
	v_subrev_co_u32_e64 v13, s[0:1], s24, v3
	v_subbrev_co_u32_e64 v12, s[0:1], 0, v12, s[0:1]
	v_cmp_le_u32_e64 s[0:1], s25, v12
	v_cndmask_b32_e64 v14, 0, -1, s[0:1]
	v_cmp_le_u32_e64 s[0:1], s24, v13
	v_cndmask_b32_e64 v13, 0, -1, s[0:1]
	v_cmp_eq_u32_e64 s[0:1], s25, v12
	v_cndmask_b32_e64 v12, v14, v13, s[0:1]
	v_add_co_u32_e64 v13, s[0:1], 2, v6
	v_addc_co_u32_e64 v14, s[0:1], 0, v9, s[0:1]
	v_add_co_u32_e64 v15, s[0:1], 1, v6
	v_addc_co_u32_e64 v16, s[0:1], 0, v9, s[0:1]
	v_subb_co_u32_e32 v4, vcc, v8, v4, vcc
	v_cmp_ne_u32_e64 s[0:1], 0, v12
	v_cmp_le_u32_e32 vcc, s25, v4
	v_cndmask_b32_e64 v12, v16, v14, s[0:1]
	v_cndmask_b32_e64 v14, 0, -1, vcc
	v_cmp_le_u32_e32 vcc, s24, v3
	v_cndmask_b32_e64 v3, 0, -1, vcc
	v_cmp_eq_u32_e32 vcc, s25, v4
	v_cndmask_b32_e32 v3, v14, v3, vcc
	v_cmp_ne_u32_e32 vcc, 0, v3
	v_cndmask_b32_e64 v3, v15, v13, s[0:1]
	v_cndmask_b32_e32 v4, v9, v12, vcc
	v_cndmask_b32_e32 v3, v6, v3, vcc
.LBB0_4:                                ;   in Loop: Header=BB0_2 Depth=1
	s_andn2_saveexec_b64 s[0:1], s[26:27]
	s_cbranch_execz .LBB0_6
; %bb.5:                                ;   in Loop: Header=BB0_2 Depth=1
	v_cvt_f32_u32_e32 v3, s24
	s_sub_i32 s26, 0, s24
	v_rcp_iflag_f32_e32 v3, v3
	v_mul_f32_e32 v3, 0x4f7ffffe, v3
	v_cvt_u32_f32_e32 v3, v3
	v_mul_lo_u32 v4, s26, v3
	v_mul_hi_u32 v4, v3, v4
	v_add_u32_e32 v3, v3, v4
	v_mul_hi_u32 v3, v7, v3
	v_mul_lo_u32 v4, v3, s24
	v_add_u32_e32 v6, 1, v3
	v_sub_u32_e32 v4, v7, v4
	v_subrev_u32_e32 v9, s24, v4
	v_cmp_le_u32_e32 vcc, s24, v4
	v_cndmask_b32_e32 v4, v4, v9, vcc
	v_cndmask_b32_e32 v3, v3, v6, vcc
	v_add_u32_e32 v6, 1, v3
	v_cmp_le_u32_e32 vcc, s24, v4
	v_cndmask_b32_e32 v3, v3, v6, vcc
	v_mov_b32_e32 v4, v5
.LBB0_6:                                ;   in Loop: Header=BB0_2 Depth=1
	s_or_b64 exec, exec, s[0:1]
	v_mul_lo_u32 v6, v4, s24
	v_mul_lo_u32 v9, v3, s25
	v_mad_u64_u32 v[12:13], s[0:1], v3, s24, 0
	s_load_dwordx2 s[0:1], s[6:7], 0x0
	s_load_dwordx2 s[24:25], s[2:3], 0x0
	v_add3_u32 v6, v13, v9, v6
	v_sub_co_u32_e32 v7, vcc, v7, v12
	v_subb_co_u32_e32 v6, vcc, v8, v6, vcc
	s_waitcnt lgkmcnt(0)
	v_mul_lo_u32 v8, s0, v6
	v_mul_lo_u32 v9, s1, v7
	v_mad_u64_u32 v[10:11], s[0:1], s0, v7, v[10:11]
	v_mul_lo_u32 v6, s24, v6
	v_mul_lo_u32 v12, s25, v7
	v_mad_u64_u32 v[1:2], s[0:1], s24, v7, v[1:2]
	s_add_u32 s22, s22, 1
	s_addc_u32 s23, s23, 0
	s_add_u32 s2, s2, 8
	v_add3_u32 v2, v12, v2, v6
	s_addc_u32 s3, s3, 0
	v_mov_b32_e32 v6, s14
	s_add_u32 s6, s6, 8
	v_mov_b32_e32 v7, s15
	s_addc_u32 s7, s7, 0
	v_cmp_ge_u64_e32 vcc, s[22:23], v[6:7]
	s_add_u32 s20, s20, 8
	v_add3_u32 v11, v9, v11, v8
	s_addc_u32 s21, s21, 0
	s_cbranch_vccnz .LBB0_9
; %bb.7:                                ;   in Loop: Header=BB0_2 Depth=1
	v_mov_b32_e32 v8, v4
	v_mov_b32_e32 v7, v3
	s_branch .LBB0_2
.LBB0_8:
	v_mov_b32_e32 v1, v10
	v_mov_b32_e32 v3, v7
	;; [unrolled: 1-line block ×4, first 2 shown]
.LBB0_9:
	s_load_dwordx2 s[0:1], s[4:5], 0x28
	s_lshl_b64 s[6:7], s[14:15], 3
	s_add_u32 s2, s18, s6
	s_addc_u32 s3, s19, s7
                                        ; implicit-def: $vgpr5
                                        ; implicit-def: $vgpr7
                                        ; implicit-def: $vgpr9
	s_waitcnt lgkmcnt(0)
	v_cmp_gt_u64_e32 vcc, s[0:1], v[3:4]
	v_cmp_le_u64_e64 s[0:1], s[0:1], v[3:4]
	s_and_saveexec_b64 s[4:5], s[0:1]
	s_xor_b64 s[0:1], exec, s[4:5]
; %bb.10:
	s_mov_b32 s4, 0x5555556
	v_mul_hi_u32 v5, v0, s4
                                        ; implicit-def: $vgpr10_vgpr11
	v_mul_u32_u24_e32 v5, 48, v5
	v_sub_u32_e32 v5, v0, v5
	v_add_u32_e32 v7, 48, v5
	v_add_u32_e32 v9, 0x60, v5
                                        ; implicit-def: $vgpr0
; %bb.11:
	s_andn2_saveexec_b64 s[4:5], s[0:1]
	s_cbranch_execz .LBB0_13
; %bb.12:
	s_add_u32 s0, s16, s6
	s_addc_u32 s1, s17, s7
	s_load_dwordx2 s[0:1], s[0:1], 0x0
	s_mov_b32 s6, 0x5555556
	v_mul_hi_u32 v5, v0, s6
	s_waitcnt lgkmcnt(0)
	v_mul_lo_u32 v8, s1, v3
	v_mul_lo_u32 v9, s0, v4
	v_mad_u64_u32 v[6:7], s[0:1], s0, v3, 0
	v_mul_u32_u24_e32 v5, 48, v5
	v_sub_u32_e32 v5, v0, v5
	v_add3_u32 v7, v7, v9, v8
	v_lshlrev_b64 v[6:7], 2, v[6:7]
	v_mov_b32_e32 v0, s9
	v_add_co_u32_e64 v8, s[0:1], s8, v6
	v_addc_co_u32_e64 v0, s[0:1], v0, v7, s[0:1]
	v_lshlrev_b64 v[6:7], 2, v[10:11]
	v_add_u32_e32 v9, 0x60, v5
	v_add_co_u32_e64 v6, s[0:1], v8, v6
	v_addc_co_u32_e64 v0, s[0:1], v0, v7, s[0:1]
	v_lshlrev_b32_e32 v8, 2, v5
	v_add_co_u32_e64 v6, s[0:1], v6, v8
	v_addc_co_u32_e64 v7, s[0:1], 0, v0, s[0:1]
	global_load_dword v0, v[6:7], off
	global_load_dword v10, v[6:7], off offset:192
	global_load_dword v11, v[6:7], off offset:384
	;; [unrolled: 1-line block ×10, first 2 shown]
	v_add_u32_e32 v7, 48, v5
	v_add_u32_e32 v6, 0, v8
	;; [unrolled: 1-line block ×3, first 2 shown]
	s_waitcnt vmcnt(9)
	ds_write2_b32 v6, v0, v10 offset1:48
	s_waitcnt vmcnt(7)
	ds_write2_b32 v6, v11, v12 offset0:96 offset1:144
	s_waitcnt vmcnt(5)
	ds_write2_b32 v6, v13, v14 offset0:192 offset1:240
	;; [unrolled: 2-line block ×4, first 2 shown]
	s_waitcnt vmcnt(0)
	ds_write_b32 v6, v19 offset:1920
.LBB0_13:
	s_or_b64 exec, exec, s[4:5]
	v_lshl_add_u32 v0, v5, 2, 0
	s_load_dwordx2 s[2:3], s[2:3], 0x0
	s_waitcnt lgkmcnt(0)
	; wave barrier
	s_waitcnt lgkmcnt(0)
	v_add_u32_e32 v6, 0x400, v0
	ds_read2_b32 v[10:11], v0 offset1:48
	ds_read2_b32 v[12:13], v6 offset0:8 offset1:56
	ds_read2_b32 v[14:15], v0 offset0:96 offset1:132
	;; [unrolled: 1-line block ×3, first 2 shown]
	v_mad_u32_u24 v25, v5, 12, v0
	s_waitcnt lgkmcnt(2)
	v_pk_add_f16 v8, v10, v12 neg_lo:[0,1] neg_hi:[0,1]
	v_pk_fma_f16 v10, v10, 2.0, v8 op_sel_hi:[1,0,1] neg_lo:[0,0,1] neg_hi:[0,0,1]
	s_waitcnt lgkmcnt(0)
	v_pk_add_f16 v12, v15, v17 neg_lo:[0,1] neg_hi:[0,1]
	v_alignbit_b32 v17, s0, v12, 16
	v_pk_add_f16 v24, v8, v17 neg_lo:[0,1] neg_hi:[0,1]
	v_alignbit_b32 v17, s0, v8, 16
	v_pk_fma_f16 v15, v15, 2.0, v12 op_sel_hi:[1,0,1] neg_lo:[0,0,1] neg_hi:[0,0,1]
	v_pk_add_f16 v12, v17, v12
	v_lshrrev_b32_e32 v17, 16, v8
	v_fma_f16 v8, v8, 2.0, -v24
	v_fma_f16 v17, v17, 2.0, -v12
	v_pack_b32_f16 v8, v8, v17
	ds_read2_b32 v[17:18], v0 offset0:180 offset1:228
	ds_read2_b32 v[19:20], v6 offset0:188 offset1:236
	v_pk_add_f16 v15, v10, v15 neg_lo:[0,1] neg_hi:[0,1]
	v_pk_fma_f16 v10, v10, 2.0, v15 op_sel_hi:[1,0,1] neg_lo:[0,0,1] neg_hi:[0,0,1]
	s_waitcnt lgkmcnt(0)
	; wave barrier
	s_waitcnt lgkmcnt(0)
	ds_write2_b32 v25, v10, v8 offset1:1
	v_pk_add_f16 v8, v14, v16 neg_lo:[0,1] neg_hi:[0,1]
	v_pk_fma_f16 v10, v14, 2.0, v8 op_sel_hi:[1,0,1] neg_lo:[0,0,1] neg_hi:[0,0,1]
	v_pk_add_f16 v13, v11, v13 neg_lo:[0,1] neg_hi:[0,1]
	v_pk_add_f16 v14, v18, v20 neg_lo:[0,1] neg_hi:[0,1]
	v_pk_fma_f16 v16, v11, 2.0, v13 op_sel_hi:[1,0,1] neg_lo:[0,0,1] neg_hi:[0,0,1]
	v_pk_fma_f16 v11, v18, 2.0, v14 op_sel_hi:[1,0,1] neg_lo:[0,0,1] neg_hi:[0,0,1]
	v_pk_add_f16 v19, v17, v19 neg_lo:[0,1] neg_hi:[0,1]
	v_pk_add_f16 v11, v10, v11 neg_lo:[0,1] neg_hi:[0,1]
	v_sub_f16_sdwa v21, v8, v14 dst_sel:DWORD dst_unused:UNUSED_PAD src0_sel:DWORD src1_sel:WORD_1
	v_pk_fma_f16 v18, v10, 2.0, v11 op_sel_hi:[1,0,1] neg_lo:[0,0,1] neg_hi:[0,0,1]
	v_pk_fma_f16 v17, v17, 2.0, v19 op_sel_hi:[1,0,1] neg_lo:[0,0,1] neg_hi:[0,0,1]
	v_fma_f16 v10, v8, 2.0, -v21
	v_lshrrev_b32_e32 v8, 16, v8
	v_pack_b32_f16 v12, v24, v12
	v_add_f16_e32 v23, v8, v14
	v_pk_add_f16 v14, v16, v17 neg_lo:[0,1] neg_hi:[0,1]
	ds_write2_b32 v25, v15, v12 offset0:2 offset1:3
	v_alignbit_b32 v12, s0, v19, 16
	v_alignbit_b32 v17, s0, v13, 16
	v_pk_add_f16 v12, v13, v12 neg_lo:[0,1] neg_hi:[0,1]
	v_lshrrev_b32_e32 v15, 16, v13
	v_pk_add_f16 v17, v17, v19
	v_fma_f16 v13, v13, 2.0, -v12
	v_fma_f16 v15, v15, 2.0, -v17
	;; [unrolled: 1-line block ×3, first 2 shown]
	v_lshl_add_u32 v8, v7, 4, 0
	v_pk_fma_f16 v16, v16, 2.0, v14 op_sel_hi:[1,0,1] neg_lo:[0,0,1] neg_hi:[0,0,1]
	v_pack_b32_f16 v13, v13, v15
	v_pack_b32_f16 v12, v12, v17
	v_cmp_gt_u32_e64 s[0:1], 36, v5
	ds_write2_b32 v8, v16, v13 offset1:1
	ds_write2_b32 v8, v14, v12 offset0:2 offset1:3
	s_and_saveexec_b64 s[4:5], s[0:1]
	s_cbranch_execz .LBB0_15
; %bb.14:
	s_mov_b32 s6, 0x5040100
	v_lshl_add_u32 v12, v9, 4, 0
	v_perm_b32 v13, v22, v10, s6
	ds_write2_b32 v12, v18, v13 offset1:1
	v_perm_b32 v13, v23, v21, s6
	ds_write2_b32 v12, v11, v13 offset0:2 offset1:3
.LBB0_15:
	s_or_b64 exec, exec, s[4:5]
	v_add_u32_e32 v26, 0x200, v0
	s_waitcnt lgkmcnt(0)
	; wave barrier
	s_waitcnt lgkmcnt(0)
	ds_read2_b32 v[12:13], v0 offset1:132
	ds_read2_b32 v[14:15], v26 offset0:52 offset1:136
	ds_read2_b32 v[16:17], v6 offset0:56 offset1:140
	v_mad_i32_i24 v6, v7, -12, v8
	ds_read_b32 v24, v6
	ds_read_b32 v25, v0 offset:1776
	v_lshlrev_b32_e32 v19, 2, v7
	v_lshrrev_b32_e32 v27, 16, v11
	v_lshl_add_u32 v20, v9, 2, 0
	s_and_saveexec_b64 s[4:5], s[0:1]
	s_cbranch_execz .LBB0_17
; %bb.16:
	ds_read2_b32 v[10:11], v26 offset0:100 offset1:232
	ds_read_b32 v21, v0 offset:1968
	ds_read_b32 v18, v20
	s_waitcnt lgkmcnt(2)
	v_lshrrev_b32_e32 v22, 16, v10
	v_lshrrev_b32_e32 v27, 16, v11
	s_waitcnt lgkmcnt(1)
	v_lshrrev_b32_e32 v23, 16, v21
.LBB0_17:
	s_or_b64 exec, exec, s[4:5]
	v_and_b32_e32 v26, 3, v5
	v_mul_u32_u24_e32 v6, 3, v26
	v_lshlrev_b32_e32 v6, 2, v6
	global_load_dwordx3 v[29:31], v6, s[12:13]
	s_waitcnt lgkmcnt(3)
	v_lshrrev_b32_e32 v32, 16, v15
	s_waitcnt lgkmcnt(2)
	v_lshrrev_b32_e32 v34, 16, v17
	v_lshrrev_b32_e32 v35, 16, v16
	;; [unrolled: 1-line block ×4, first 2 shown]
	s_waitcnt lgkmcnt(0)
	v_lshrrev_b32_e32 v36, 16, v25
	v_lshrrev_b32_e32 v38, 16, v12
	;; [unrolled: 1-line block ×3, first 2 shown]
	s_movk_i32 s4, 0xf0
	v_lshlrev_b32_e32 v6, 2, v5
	v_and_or_b32 v40, v6, s4, v26
	v_lshl_add_u32 v40, v40, 2, 0
	s_waitcnt lgkmcnt(0)
	; wave barrier
	s_movk_i32 s4, 0x1f0
	v_mul_i32_i24_e32 v28, -12, v7
	s_waitcnt vmcnt(0)
	v_mul_f16_sdwa v41, v30, v32 dst_sel:DWORD dst_unused:UNUSED_PAD src0_sel:WORD_1 src1_sel:DWORD
	v_mul_f16_sdwa v43, v30, v15 dst_sel:DWORD dst_unused:UNUSED_PAD src0_sel:WORD_1 src1_sel:DWORD
	;; [unrolled: 1-line block ×6, first 2 shown]
	v_mul_f16_sdwa v50, v27, v30 dst_sel:DWORD dst_unused:UNUSED_PAD src0_sel:DWORD src1_sel:WORD_1
	v_mul_f16_sdwa v52, v11, v30 dst_sel:DWORD dst_unused:UNUSED_PAD src0_sel:DWORD src1_sel:WORD_1
	v_mul_f16_sdwa v57, v29, v13 dst_sel:DWORD dst_unused:UNUSED_PAD src0_sel:WORD_1 src1_sel:DWORD
	v_mul_f16_sdwa v58, v29, v37 dst_sel:DWORD dst_unused:UNUSED_PAD src0_sel:WORD_1 src1_sel:DWORD
	;; [unrolled: 1-line block ×4, first 2 shown]
	v_mul_f16_sdwa v49, v22, v29 dst_sel:DWORD dst_unused:UNUSED_PAD src0_sel:DWORD src1_sel:WORD_1
	v_mul_f16_sdwa v51, v10, v29 dst_sel:DWORD dst_unused:UNUSED_PAD src0_sel:DWORD src1_sel:WORD_1
	v_mul_f16_sdwa v53, v31, v36 dst_sel:DWORD dst_unused:UNUSED_PAD src0_sel:WORD_1 src1_sel:DWORD
	v_mul_f16_sdwa v54, v31, v25 dst_sel:DWORD dst_unused:UNUSED_PAD src0_sel:WORD_1 src1_sel:DWORD
	v_mul_f16_sdwa v55, v23, v31 dst_sel:DWORD dst_unused:UNUSED_PAD src0_sel:DWORD src1_sel:WORD_1
	v_mul_f16_sdwa v56, v21, v31 dst_sel:DWORD dst_unused:UNUSED_PAD src0_sel:DWORD src1_sel:WORD_1
	v_fma_f16 v15, v30, v15, -v41
	v_fma_f16 v17, v31, v17, -v45
	;; [unrolled: 1-line block ×4, first 2 shown]
	v_fma_f16 v32, v30, v32, v43
	v_fma_f16 v34, v31, v34, v47
	;; [unrolled: 1-line block ×5, first 2 shown]
	v_fma_f16 v13, v29, v13, -v58
	v_fma_f16 v14, v29, v14, -v42
	;; [unrolled: 1-line block ×3, first 2 shown]
	v_fma_f16 v33, v29, v33, v44
	v_fma_f16 v25, v31, v25, -v53
	v_fma_f16 v36, v31, v36, v54
	v_fma_f16 v22, v22, v29, v51
	v_fma_f16 v21, v21, v31, -v55
	v_fma_f16 v23, v23, v31, v56
	v_sub_f16_e32 v15, v12, v15
	v_sub_f16_e32 v29, v38, v32
	;; [unrolled: 1-line block ×7, first 2 shown]
	v_fma_f16 v34, v12, 2.0, -v15
	v_fma_f16 v35, v38, 2.0, -v29
	v_fma_f16 v13, v13, 2.0, -v17
	v_fma_f16 v30, v30, 2.0, -v31
	v_sub_f16_e32 v31, v15, v31
	v_add_f16_e32 v17, v29, v17
	v_sub_f16_e32 v13, v34, v13
	v_sub_f16_e32 v30, v35, v30
	v_fma_f16 v38, v39, 2.0, -v23
	v_pack_b32_f16 v39, v31, v17
	v_fma_f16 v15, v15, 2.0, -v31
	v_fma_f16 v17, v29, 2.0, -v17
	v_pack_b32_f16 v29, v13, v30
	v_fma_f16 v13, v34, 2.0, -v13
	v_fma_f16 v30, v35, 2.0, -v30
	v_pack_b32_f16 v15, v15, v17
	v_pack_b32_f16 v13, v13, v30
	v_sub_f16_e32 v16, v24, v16
	ds_write2_b32 v40, v13, v15 offset1:4
	v_sub_f16_e32 v13, v33, v36
	v_sub_f16_e32 v25, v14, v25
	v_fma_f16 v15, v33, 2.0, -v13
	v_sub_f16_e32 v30, v16, v13
	v_lshrrev_b32_e32 v13, 16, v18
	v_sub_f16_e32 v21, v10, v21
	v_fma_f16 v12, v18, 2.0, -v32
	v_fma_f16 v24, v24, 2.0, -v16
	;; [unrolled: 1-line block ×3, first 2 shown]
	v_sub_f16_e32 v18, v13, v27
	v_fma_f16 v10, v10, 2.0, -v21
	v_fma_f16 v37, v22, 2.0, -v11
	v_sub_f16_e32 v22, v32, v11
	v_sub_f16_e32 v14, v24, v14
	;; [unrolled: 1-line block ×3, first 2 shown]
	v_add_f16_e32 v31, v23, v25
	v_add_f16_e32 v25, v18, v21
	v_sub_f16_e32 v11, v12, v10
	v_fma_f16 v10, v32, 2.0, -v22
	ds_write2_b32 v40, v29, v39 offset0:8 offset1:12
	v_fma_f16 v17, v24, 2.0, -v14
	v_fma_f16 v29, v38, 2.0, -v15
	;; [unrolled: 1-line block ×6, first 2 shown]
	v_and_or_b32 v18, v19, s4, v26
	v_sub_f16_e32 v24, v13, v37
	v_lshl_add_u32 v18, v18, 2, 0
	v_pack_b32_f16 v17, v17, v29
	v_pack_b32_f16 v16, v16, v32
	;; [unrolled: 1-line block ×4, first 2 shown]
	ds_write2_b32 v18, v17, v16 offset1:4
	ds_write2_b32 v18, v14, v15 offset0:8 offset1:12
	s_and_saveexec_b64 s[4:5], s[0:1]
	s_cbranch_execz .LBB0_19
; %bb.18:
	v_lshlrev_b32_e32 v14, 2, v9
	s_movk_i32 s0, 0x3f0
	v_fma_f16 v12, v12, 2.0, -v11
	v_fma_f16 v13, v13, 2.0, -v24
	v_and_or_b32 v14, v14, s0, v26
	s_mov_b32 s0, 0x5040100
	v_lshl_add_u32 v14, v14, 2, 0
	v_pack_b32_f16 v12, v12, v13
	v_perm_b32 v13, v23, v10, s0
	ds_write2_b32 v14, v12, v13 offset1:4
	v_perm_b32 v12, v24, v11, s0
	v_perm_b32 v13, v25, v22, s0
	ds_write2_b32 v14, v12, v13 offset0:8 offset1:12
.LBB0_19:
	s_or_b64 exec, exec, s[4:5]
	v_add_u32_e32 v12, 0x400, v0
	v_add_u32_e32 v21, v8, v28
	v_add_u32_e32 v8, 0x200, v0
	s_waitcnt lgkmcnt(0)
	; wave barrier
	s_waitcnt lgkmcnt(0)
	ds_read2_b32 v[14:15], v0 offset1:176
	ds_read2_b32 v[16:17], v12 offset0:96 offset1:144
	ds_read2_b32 v[18:19], v8 offset0:96 offset1:144
	ds_read_b32 v26, v20
	ds_read_b32 v27, v21
	ds_read_b32 v28, v0 offset:1792
	v_cmp_gt_u32_e64 s[0:1], 32, v5
	s_and_saveexec_b64 s[4:5], s[0:1]
	s_cbranch_execz .LBB0_21
; %bb.20:
	ds_read2_b32 v[10:11], v8 offset0:16 offset1:192
	ds_read_b32 v22, v0 offset:1984
	s_waitcnt lgkmcnt(1)
	v_lshrrev_b32_e32 v23, 16, v10
	v_lshrrev_b32_e32 v24, 16, v11
	s_waitcnt lgkmcnt(0)
	v_lshrrev_b32_e32 v25, 16, v22
.LBB0_21:
	s_or_b64 exec, exec, s[4:5]
	v_and_b32_e32 v8, 15, v5
	v_lshlrev_b32_e32 v12, 3, v8
	global_load_dwordx2 v[12:13], v12, s[12:13] offset:48
	s_waitcnt lgkmcnt(5)
	v_lshrrev_b32_e32 v31, 16, v15
	s_waitcnt lgkmcnt(4)
	v_lshrrev_b32_e32 v32, 16, v16
	v_lshrrev_b32_e32 v37, 16, v14
	s_waitcnt lgkmcnt(3)
	v_lshrrev_b32_e32 v33, 16, v18
	v_lshrrev_b32_e32 v34, 16, v17
	;; [unrolled: 1-line block ×3, first 2 shown]
	s_waitcnt lgkmcnt(0)
	v_lshrrev_b32_e32 v36, 16, v28
	v_lshrrev_b32_e32 v29, 16, v27
	;; [unrolled: 1-line block ×3, first 2 shown]
	s_movk_i32 s6, 0x3aee
	s_mov_b32 s7, 0xbaee
	v_lshrrev_b32_e32 v38, 4, v5
	v_mul_u32_u24_e32 v38, 48, v38
	v_or_b32_e32 v38, v38, v8
	v_lshl_add_u32 v38, v38, 2, 0
	s_waitcnt lgkmcnt(0)
	; wave barrier
	s_waitcnt vmcnt(0)
	v_mul_f16_sdwa v39, v12, v31 dst_sel:DWORD dst_unused:UNUSED_PAD src0_sel:WORD_1 src1_sel:DWORD
	v_mul_f16_sdwa v40, v12, v15 dst_sel:DWORD dst_unused:UNUSED_PAD src0_sel:WORD_1 src1_sel:DWORD
	;; [unrolled: 1-line block ×4, first 2 shown]
	v_fma_f16 v31, v12, v31, v40
	v_fma_f16 v15, v12, v15, -v39
	v_fma_f16 v32, v13, v32, v42
	v_fma_f16 v16, v13, v16, -v41
	v_add_f16_e32 v39, v15, v14
	v_add_f16_e32 v42, v31, v37
	v_mul_f16_sdwa v43, v12, v33 dst_sel:DWORD dst_unused:UNUSED_PAD src0_sel:WORD_1 src1_sel:DWORD
	v_mul_f16_sdwa v44, v12, v18 dst_sel:DWORD dst_unused:UNUSED_PAD src0_sel:WORD_1 src1_sel:DWORD
	v_mul_f16_sdwa v46, v13, v17 dst_sel:DWORD dst_unused:UNUSED_PAD src0_sel:WORD_1 src1_sel:DWORD
	v_mul_f16_sdwa v48, v12, v19 dst_sel:DWORD dst_unused:UNUSED_PAD src0_sel:WORD_1 src1_sel:DWORD
	v_mul_f16_sdwa v50, v13, v28 dst_sel:DWORD dst_unused:UNUSED_PAD src0_sel:WORD_1 src1_sel:DWORD
	v_add_f16_e32 v40, v15, v16
	v_sub_f16_e32 v41, v31, v32
	v_add_f16_e32 v31, v31, v32
	v_sub_f16_e32 v15, v15, v16
	v_add_f16_e32 v16, v39, v16
	v_add_f16_e32 v32, v42, v32
	v_mul_f16_sdwa v45, v13, v34 dst_sel:DWORD dst_unused:UNUSED_PAD src0_sel:WORD_1 src1_sel:DWORD
	v_mul_f16_sdwa v47, v12, v35 dst_sel:DWORD dst_unused:UNUSED_PAD src0_sel:WORD_1 src1_sel:DWORD
	;; [unrolled: 1-line block ×3, first 2 shown]
	v_fma_f16 v33, v12, v33, v44
	v_fma_f16 v18, v12, v18, -v43
	v_fma_f16 v34, v13, v34, v46
	v_fma_f16 v35, v12, v35, v48
	;; [unrolled: 1-line block ×3, first 2 shown]
	v_pack_b32_f16 v16, v16, v32
	v_lshrrev_b32_e32 v32, 4, v7
	v_fma_f16 v17, v13, v17, -v45
	v_fma_f16 v28, v13, v28, -v49
	v_add_f16_e32 v43, v27, v18
	v_sub_f16_e32 v45, v33, v34
	v_add_f16_e32 v46, v29, v33
	v_add_f16_e32 v33, v33, v34
	v_sub_f16_e32 v49, v35, v36
	v_add_f16_e32 v50, v30, v35
	v_add_f16_e32 v35, v35, v36
	v_fma_f16 v14, v40, -0.5, v14
	v_fma_f16 v31, v31, -0.5, v37
	v_mul_lo_u32 v32, v32, 48
	v_add_f16_e32 v44, v18, v17
	v_sub_f16_e32 v18, v18, v17
	v_add_f16_e32 v17, v43, v17
	v_add_f16_e32 v34, v46, v34
	v_fma_f16 v29, v33, -0.5, v29
	v_add_f16_e32 v33, v50, v36
	v_fma_f16 v30, v35, -0.5, v30
	v_fma_f16 v35, v41, s6, v14
	v_fma_f16 v14, v41, s7, v14
	;; [unrolled: 1-line block ×4, first 2 shown]
	v_fma_f16 v19, v12, v19, -v47
	v_pack_b32_f16 v14, v14, v15
	v_pack_b32_f16 v15, v17, v34
	v_lshrrev_b32_e32 v17, 4, v9
	v_add_f16_e32 v47, v26, v19
	v_add_f16_e32 v48, v19, v28
	v_sub_f16_e32 v19, v19, v28
	v_fma_f16 v27, v44, -0.5, v27
	v_mul_lo_u32 v17, v17, 48
	v_fma_f16 v31, v45, s6, v27
	v_fma_f16 v37, v18, s7, v29
	;; [unrolled: 1-line block ×4, first 2 shown]
	v_pack_b32_f16 v30, v35, v36
	ds_write_b32 v38, v14 offset:128
	v_or_b32_e32 v14, v32, v8
	v_fma_f16 v27, v45, s7, v27
	v_fma_f16 v18, v18, s6, v29
	ds_write2_b32 v38, v16, v30 offset1:16
	v_lshl_add_u32 v14, v14, 2, 0
	v_pack_b32_f16 v16, v31, v37
	v_fma_f16 v26, v48, -0.5, v26
	ds_write2_b32 v14, v15, v16 offset1:16
	v_pack_b32_f16 v15, v27, v18
	v_add_f16_e32 v28, v47, v28
	v_fma_f16 v29, v49, s6, v26
	ds_write_b32 v14, v15 offset:128
	v_or_b32_e32 v14, v17, v8
	v_fma_f16 v26, v49, s7, v26
	v_lshl_add_u32 v14, v14, 2, 0
	v_pack_b32_f16 v15, v28, v33
	v_pack_b32_f16 v16, v29, v39
	ds_write2_b32 v14, v15, v16 offset1:16
	v_pack_b32_f16 v15, v26, v19
	ds_write_b32 v14, v15 offset:128
	s_and_saveexec_b64 s[4:5], s[0:1]
	s_cbranch_execz .LBB0_23
; %bb.22:
	v_mul_f16_sdwa v15, v24, v12 dst_sel:DWORD dst_unused:UNUSED_PAD src0_sel:DWORD src1_sel:WORD_1
	v_fma_f16 v15, v11, v12, -v15
	v_mul_f16_sdwa v11, v11, v12 dst_sel:DWORD dst_unused:UNUSED_PAD src0_sel:DWORD src1_sel:WORD_1
	v_fma_f16 v11, v24, v12, v11
	v_mul_f16_sdwa v12, v22, v13 dst_sel:DWORD dst_unused:UNUSED_PAD src0_sel:DWORD src1_sel:WORD_1
	v_mul_f16_sdwa v16, v25, v13 dst_sel:DWORD dst_unused:UNUSED_PAD src0_sel:DWORD src1_sel:WORD_1
	v_fma_f16 v12, v25, v13, v12
	v_add_u32_e32 v14, 0x90, v5
	v_fma_f16 v16, v22, v13, -v16
	v_add_f16_e32 v13, v11, v12
	v_sub_f16_e32 v22, v11, v12
	v_add_f16_e32 v11, v23, v11
	v_add_f16_e32 v19, v15, v16
	;; [unrolled: 1-line block ×3, first 2 shown]
	v_lshrrev_b32_e32 v12, 4, v14
	v_sub_f16_e32 v17, v15, v16
	v_fma_f16 v13, v13, -0.5, v23
	v_fma_f16 v19, v19, -0.5, v10
	v_add_f16_e32 v10, v10, v15
	v_mul_u32_u24_e32 v12, 48, v12
	v_fma_f16 v18, v17, s6, v13
	v_fma_f16 v13, v17, s7, v13
	;; [unrolled: 1-line block ×3, first 2 shown]
	v_add_f16_e32 v10, v10, v16
	v_or_b32_e32 v8, v12, v8
	v_fma_f16 v24, v22, s7, v19
	v_lshl_add_u32 v8, v8, 2, 0
	v_pack_b32_f16 v10, v10, v11
	v_pack_b32_f16 v11, v17, v13
	ds_write2_b32 v8, v10, v11 offset1:16
	v_pack_b32_f16 v10, v24, v18
	ds_write_b32 v8, v10 offset:128
.LBB0_23:
	s_or_b64 exec, exec, s[4:5]
	v_mul_u32_u24_e32 v8, 10, v5
	v_lshlrev_b32_e32 v8, 2, v8
	s_waitcnt lgkmcnt(0)
	; wave barrier
	s_waitcnt lgkmcnt(0)
	global_load_dwordx4 v[10:13], v8, s[12:13] offset:176
	global_load_dwordx4 v[14:17], v8, s[12:13] offset:192
	global_load_dwordx2 v[18:19], v8, s[12:13] offset:208
	ds_read2_b32 v[22:23], v0 offset1:144
	ds_read_b32 v8, v20
	ds_read2_b32 v[24:25], v0 offset0:192 offset1:240
	ds_read_b32 v30, v21
	ds_read_b32 v31, v0 offset:1920
	v_add_u32_e32 v32, 0x400, v0
	ds_read2_b32 v[26:27], v32 offset0:32 offset1:80
	ds_read2_b32 v[28:29], v32 offset0:128 offset1:176
	s_waitcnt lgkmcnt(5)
	v_lshrrev_b32_e32 v35, 16, v8
	s_waitcnt lgkmcnt(3)
	v_lshrrev_b32_e32 v34, 16, v30
	;; [unrolled: 2-line block ×3, first 2 shown]
	v_lshrrev_b32_e32 v36, 16, v23
	v_lshrrev_b32_e32 v37, 16, v24
	;; [unrolled: 1-line block ×3, first 2 shown]
	s_waitcnt lgkmcnt(1)
	v_lshrrev_b32_e32 v39, 16, v26
	v_lshrrev_b32_e32 v40, 16, v27
	s_waitcnt lgkmcnt(0)
	v_lshrrev_b32_e32 v41, 16, v28
	v_lshrrev_b32_e32 v42, 16, v29
	s_movk_i32 s0, 0x3abb
	s_movk_i32 s1, 0x36a6
	s_mov_b32 s4, 0xb08e
	s_mov_b32 s5, 0xb93d
	;; [unrolled: 1-line block ×3, first 2 shown]
	s_waitcnt lgkmcnt(0)
	; wave barrier
	s_waitcnt vmcnt(2)
	v_mul_f16_sdwa v43, v10, v34 dst_sel:DWORD dst_unused:UNUSED_PAD src0_sel:WORD_1 src1_sel:DWORD
	v_mul_f16_sdwa v44, v10, v30 dst_sel:DWORD dst_unused:UNUSED_PAD src0_sel:WORD_1 src1_sel:DWORD
	;; [unrolled: 1-line block ×4, first 2 shown]
	s_waitcnt vmcnt(0)
	v_mul_f16_sdwa v61, v33, v19 dst_sel:DWORD dst_unused:UNUSED_PAD src0_sel:DWORD src1_sel:WORD_1
	v_mul_f16_sdwa v62, v31, v19 dst_sel:DWORD dst_unused:UNUSED_PAD src0_sel:DWORD src1_sel:WORD_1
	v_fma_f16 v30, v10, v30, -v43
	v_fma_f16 v10, v10, v34, v44
	v_mul_f16_sdwa v47, v12, v36 dst_sel:DWORD dst_unused:UNUSED_PAD src0_sel:WORD_1 src1_sel:DWORD
	v_mul_f16_sdwa v48, v12, v23 dst_sel:DWORD dst_unused:UNUSED_PAD src0_sel:WORD_1 src1_sel:DWORD
	v_fma_f16 v8, v11, v8, -v45
	v_fma_f16 v11, v11, v35, v46
	v_fma_f16 v31, v31, v19, -v61
	v_fma_f16 v19, v33, v19, v62
	v_add_f16_e32 v33, v30, v22
	v_add_f16_sdwa v34, v10, v22 dst_sel:DWORD dst_unused:UNUSED_PAD src0_sel:DWORD src1_sel:WORD_1
	v_mul_f16_sdwa v49, v13, v37 dst_sel:DWORD dst_unused:UNUSED_PAD src0_sel:WORD_1 src1_sel:DWORD
	v_mul_f16_sdwa v50, v13, v24 dst_sel:DWORD dst_unused:UNUSED_PAD src0_sel:WORD_1 src1_sel:DWORD
	v_fma_f16 v23, v12, v23, -v47
	v_fma_f16 v12, v12, v36, v48
	v_add_f16_e32 v33, v33, v8
	v_add_f16_e32 v34, v34, v11
	v_mul_f16_sdwa v51, v14, v38 dst_sel:DWORD dst_unused:UNUSED_PAD src0_sel:WORD_1 src1_sel:DWORD
	v_mul_f16_sdwa v52, v14, v25 dst_sel:DWORD dst_unused:UNUSED_PAD src0_sel:WORD_1 src1_sel:DWORD
	v_fma_f16 v24, v13, v24, -v49
	v_fma_f16 v13, v13, v37, v50
	v_add_f16_e32 v33, v33, v23
	v_add_f16_e32 v34, v34, v12
	v_mul_f16_sdwa v53, v39, v15 dst_sel:DWORD dst_unused:UNUSED_PAD src0_sel:DWORD src1_sel:WORD_1
	v_mul_f16_sdwa v54, v26, v15 dst_sel:DWORD dst_unused:UNUSED_PAD src0_sel:DWORD src1_sel:WORD_1
	v_fma_f16 v25, v14, v25, -v51
	v_fma_f16 v14, v14, v38, v52
	v_add_f16_e32 v33, v33, v24
	v_add_f16_e32 v34, v34, v13
	v_mul_f16_sdwa v55, v40, v16 dst_sel:DWORD dst_unused:UNUSED_PAD src0_sel:DWORD src1_sel:WORD_1
	v_mul_f16_sdwa v56, v27, v16 dst_sel:DWORD dst_unused:UNUSED_PAD src0_sel:DWORD src1_sel:WORD_1
	;; [unrolled: 6-line block ×4, first 2 shown]
	v_fma_f16 v28, v28, v17, -v57
	v_fma_f16 v17, v41, v17, v58
	v_add_f16_e32 v33, v33, v27
	v_add_f16_e32 v34, v34, v16
	v_fma_f16 v29, v29, v18, -v59
	v_fma_f16 v18, v42, v18, v60
	v_add_f16_e32 v35, v30, v31
	v_add_f16_e32 v36, v10, v19
	v_sub_f16_e32 v30, v30, v31
	v_sub_f16_e32 v10, v10, v19
	v_add_f16_e32 v33, v33, v28
	v_add_f16_e32 v34, v34, v17
	v_mul_f16_e32 v37, 0xb853, v10
	v_mul_f16_e32 v38, 0xb853, v30
	v_add_f16_e32 v33, v33, v29
	v_add_f16_e32 v34, v34, v18
	v_fma_f16 v39, v35, s0, -v37
	v_add_f16_e32 v31, v33, v31
	v_add_f16_e32 v19, v34, v19
	v_fma_f16 v33, v36, s0, v38
	v_fma_f16 v34, v35, s0, v37
	v_fma_f16 v37, v36, s0, -v38
	v_mul_f16_e32 v38, 0xbb47, v10
	v_mul_f16_e32 v41, 0xbb47, v30
	;; [unrolled: 1-line block ×8, first 2 shown]
	v_fma_f16 v40, v35, s1, -v38
	v_fma_f16 v42, v36, s1, v41
	v_fma_f16 v38, v35, s1, v38
	v_fma_f16 v41, v36, s1, -v41
	v_fma_f16 v44, v35, s4, -v43
	v_fma_f16 v46, v36, s4, v45
	v_fma_f16 v43, v35, s4, v43
	v_fma_f16 v45, v36, s4, -v45
	;; [unrolled: 4-line block ×4, first 2 shown]
	v_add_f16_e32 v35, v11, v18
	v_sub_f16_e32 v11, v11, v18
	v_add_f16_e32 v39, v39, v22
	v_add_f16_sdwa v33, v33, v22 dst_sel:DWORD dst_unused:UNUSED_PAD src0_sel:DWORD src1_sel:WORD_1
	v_add_f16_e32 v34, v34, v22
	v_add_f16_sdwa v37, v37, v22 dst_sel:DWORD dst_unused:UNUSED_PAD src0_sel:DWORD src1_sel:WORD_1
	;; [unrolled: 2-line block ×10, first 2 shown]
	v_add_f16_e32 v30, v8, v29
	v_sub_f16_e32 v8, v8, v29
	v_mul_f16_e32 v18, 0xbb47, v11
	v_fma_f16 v29, v30, s1, -v18
	v_mul_f16_e32 v36, 0xbb47, v8
	v_fma_f16 v18, v30, s1, v18
	v_add_f16_e32 v29, v29, v39
	v_fma_f16 v39, v35, s1, v36
	v_add_f16_e32 v18, v18, v34
	v_fma_f16 v34, v35, s1, -v36
	v_mul_f16_e32 v36, 0xba0c, v11
	v_add_f16_e32 v33, v39, v33
	v_add_f16_e32 v34, v34, v37
	v_fma_f16 v37, v30, s5, -v36
	v_mul_f16_e32 v39, 0xba0c, v8
	v_fma_f16 v36, v30, s5, v36
	v_add_f16_e32 v37, v37, v40
	v_fma_f16 v40, v35, s5, v39
	v_add_f16_e32 v36, v36, v38
	v_fma_f16 v38, v35, s5, -v39
	v_mul_f16_e32 v39, 0x3482, v11
	v_add_f16_e32 v40, v40, v42
	v_add_f16_e32 v38, v38, v41
	;; [unrolled: 10-line block ×3, first 2 shown]
	v_fma_f16 v45, v30, s4, -v43
	v_mul_f16_e32 v46, 0x3beb, v8
	v_add_f16_e32 v45, v45, v48
	v_fma_f16 v48, v35, s4, v46
	v_fma_f16 v46, v35, s4, -v46
	v_mul_f16_e32 v8, 0x3853, v8
	v_fma_f16 v43, v30, s4, v43
	v_add_f16_e32 v46, v46, v49
	v_mul_f16_e32 v11, 0x3853, v11
	v_fma_f16 v49, v35, s0, v8
	v_fma_f16 v8, v35, s0, -v8
	v_add_f16_e32 v43, v43, v47
	v_fma_f16 v47, v30, s0, -v11
	v_fma_f16 v11, v30, s0, v11
	v_add_f16_e32 v8, v8, v22
	v_add_f16_e32 v22, v12, v17
	v_sub_f16_e32 v12, v12, v17
	v_add_f16_e32 v10, v11, v10
	v_add_f16_e32 v11, v23, v28
	v_mul_f16_e32 v17, 0xbbeb, v12
	v_sub_f16_e32 v23, v23, v28
	v_fma_f16 v28, v11, s4, -v17
	v_add_f16_e32 v28, v28, v29
	v_mul_f16_e32 v29, 0xbbeb, v23
	v_fma_f16 v17, v11, s4, v17
	v_fma_f16 v30, v22, s4, v29
	v_add_f16_e32 v17, v17, v18
	v_fma_f16 v18, v22, s4, -v29
	v_mul_f16_e32 v29, 0x3482, v12
	v_add_f16_e32 v30, v30, v33
	v_fma_f16 v33, v11, s6, -v29
	v_fma_f16 v29, v11, s6, v29
	v_add_f16_e32 v18, v18, v34
	v_mul_f16_e32 v34, 0x3482, v23
	v_add_f16_e32 v29, v29, v36
	v_mul_f16_e32 v36, 0x3b47, v12
	v_add_f16_e32 v33, v33, v37
	v_fma_f16 v35, v22, s6, v34
	v_fma_f16 v34, v22, s6, -v34
	v_fma_f16 v37, v11, s1, -v36
	v_fma_f16 v36, v11, s1, v36
	v_add_f16_e32 v34, v34, v38
	v_mul_f16_e32 v38, 0x3b47, v23
	v_add_f16_e32 v36, v36, v39
	v_mul_f16_e32 v39, 0xb853, v12
	v_add_f16_e32 v35, v35, v40
	v_add_f16_e32 v37, v37, v41
	v_fma_f16 v40, v22, s1, v38
	v_fma_f16 v38, v22, s1, -v38
	v_fma_f16 v41, v11, s0, -v39
	v_fma_f16 v39, v11, s0, v39
	v_mul_f16_e32 v12, 0xba0c, v12
	v_add_f16_e32 v38, v38, v42
	v_mul_f16_e32 v42, 0xb853, v23
	v_add_f16_e32 v39, v39, v43
	v_fma_f16 v43, v11, s5, -v12
	v_mul_f16_e32 v23, 0xba0c, v23
	v_fma_f16 v11, v11, s5, v12
	v_add_f16_e32 v10, v11, v10
	v_fma_f16 v11, v22, s5, -v23
	v_add_f16_e32 v12, v13, v16
	v_sub_f16_e32 v13, v13, v16
	v_add_f16_e32 v40, v40, v44
	v_add_f16_e32 v41, v41, v45
	v_fma_f16 v44, v22, s0, v42
	v_fma_f16 v42, v22, s0, -v42
	v_fma_f16 v45, v22, s5, v23
	v_add_f16_e32 v8, v11, v8
	v_add_f16_e32 v11, v24, v27
	v_sub_f16_e32 v22, v24, v27
	v_mul_f16_e32 v16, 0xba0c, v13
	v_fma_f16 v23, v11, s5, -v16
	v_mul_f16_e32 v24, 0xba0c, v22
	v_fma_f16 v16, v11, s5, v16
	v_add_f16_e32 v16, v16, v17
	v_fma_f16 v17, v12, s5, -v24
	v_add_f16_e32 v17, v17, v18
	v_mul_f16_e32 v18, 0x3beb, v13
	v_fma_f16 v27, v12, s5, v24
	v_fma_f16 v24, v11, s4, -v18
	v_fma_f16 v18, v11, s4, v18
	v_add_f16_e32 v23, v23, v28
	v_mul_f16_e32 v28, 0x3beb, v22
	v_add_f16_e32 v18, v18, v29
	v_mul_f16_e32 v29, 0xb853, v13
	v_add_f16_e32 v27, v27, v30
	v_add_f16_e32 v24, v24, v33
	v_fma_f16 v30, v12, s4, v28
	v_fma_f16 v28, v12, s4, -v28
	v_fma_f16 v33, v11, s0, -v29
	v_fma_f16 v29, v11, s0, v29
	v_add_f16_e32 v28, v28, v34
	v_mul_f16_e32 v34, 0xb853, v22
	v_add_f16_e32 v29, v29, v36
	v_mul_f16_e32 v36, 0xb482, v13
	v_add_f16_e32 v30, v30, v35
	v_add_f16_e32 v33, v33, v37
	v_fma_f16 v35, v12, s0, v34
	v_fma_f16 v34, v12, s0, -v34
	v_fma_f16 v37, v11, s6, -v36
	v_fma_f16 v36, v11, s6, v36
	v_mul_f16_e32 v13, 0x3b47, v13
	v_add_f16_e32 v34, v34, v38
	v_mul_f16_e32 v38, 0xb482, v22
	v_add_f16_e32 v36, v36, v39
	v_fma_f16 v39, v11, s1, -v13
	v_mul_f16_e32 v22, 0x3b47, v22
	v_fma_f16 v11, v11, s1, v13
	v_add_f16_e32 v35, v35, v40
	v_add_f16_e32 v37, v37, v41
	v_fma_f16 v40, v12, s6, v38
	v_fma_f16 v38, v12, s6, -v38
	v_fma_f16 v41, v12, s1, v22
	v_add_f16_e32 v10, v11, v10
	v_fma_f16 v11, v12, s1, -v22
	v_add_f16_e32 v12, v14, v15
	v_sub_f16_e32 v14, v14, v15
	v_add_f16_e32 v8, v11, v8
	v_add_f16_e32 v11, v25, v26
	v_mul_f16_e32 v15, 0xb482, v14
	v_sub_f16_e32 v13, v25, v26
	v_fma_f16 v22, v11, s6, -v15
	v_add_f16_e32 v22, v22, v23
	v_mul_f16_e32 v23, 0xb482, v13
	v_fma_f16 v15, v11, s6, v15
	v_add_f16_e32 v15, v15, v16
	v_fma_f16 v16, v12, s6, -v23
	v_add_f16_e32 v16, v16, v17
	v_mul_f16_e32 v17, 0x3853, v14
	v_fma_f16 v25, v12, s6, v23
	v_fma_f16 v23, v11, s0, -v17
	v_add_f16_e32 v23, v23, v24
	v_mul_f16_e32 v24, 0x3853, v13
	v_fma_f16 v17, v11, s0, v17
	v_fma_f16 v26, v12, s0, v24
	v_add_f16_e32 v17, v17, v18
	v_fma_f16 v18, v12, s0, -v24
	v_mul_f16_e32 v24, 0xba0c, v14
	v_add_f16_e32 v25, v25, v27
	v_fma_f16 v27, v11, s5, -v24
	v_fma_f16 v24, v11, s5, v24
	v_add_f16_e32 v18, v18, v28
	v_mul_f16_e32 v28, 0xba0c, v13
	v_add_f16_e32 v24, v24, v29
	v_mul_f16_e32 v29, 0x3b47, v14
	v_add_f16_e32 v26, v26, v30
	v_add_f16_e32 v27, v27, v33
	v_fma_f16 v30, v12, s5, v28
	v_fma_f16 v28, v12, s5, -v28
	v_fma_f16 v33, v11, s1, -v29
	v_fma_f16 v29, v11, s1, v29
	v_mul_f16_e32 v14, 0xbbeb, v14
	v_add_f16_e32 v42, v42, v46
	v_add_f16_e32 v28, v28, v34
	v_mul_f16_e32 v34, 0x3b47, v13
	v_add_f16_e32 v29, v29, v36
	v_fma_f16 v36, v11, s4, -v14
	v_mul_f16_e32 v13, 0xbbeb, v13
	v_fma_f16 v11, v11, s4, v14
	v_add_f16_e32 v48, v48, v50
	v_add_f16_e32 v47, v47, v51
	;; [unrolled: 1-line block ×5, first 2 shown]
	v_fma_f16 v35, v12, s1, v34
	v_fma_f16 v34, v12, s1, -v34
	v_add_f16_e32 v10, v11, v10
	v_fma_f16 v11, v12, s4, -v13
	v_add_f16_e32 v44, v44, v48
	v_add_f16_e32 v43, v43, v47
	v_add_f16_e32 v45, v45, v49
	v_add_f16_e32 v34, v34, v38
	v_add_f16_e32 v8, v11, v8
	v_add_f16_e32 v40, v40, v44
	v_add_f16_e32 v39, v39, v43
	v_add_f16_e32 v41, v41, v45
	v_add_f16_e32 v33, v33, v37
	v_fma_f16 v37, v12, s4, v13
	v_pack_b32_f16 v11, v31, v19
	v_pack_b32_f16 v12, v22, v25
	v_pack_b32_f16 v8, v10, v8
	v_pack_b32_f16 v10, v29, v34
	v_add_f16_e32 v35, v35, v40
	v_add_f16_e32 v36, v36, v39
	;; [unrolled: 1-line block ×3, first 2 shown]
	ds_write2_b32 v0, v11, v12 offset1:48
	v_pack_b32_f16 v11, v23, v26
	v_pack_b32_f16 v12, v27, v30
	ds_write2_b32 v32, v8, v10 offset0:32 offset1:80
	v_pack_b32_f16 v8, v24, v28
	v_pack_b32_f16 v10, v17, v18
	ds_write2_b32 v0, v11, v12 offset0:96 offset1:144
	;; [unrolled: 3-line block ×3, first 2 shown]
	v_pack_b32_f16 v8, v15, v16
	ds_write2_b32 v0, v11, v12 offset0:192 offset1:240
	ds_write_b32 v0, v8 offset:1920
	s_waitcnt lgkmcnt(0)
	; wave barrier
	s_waitcnt lgkmcnt(0)
	ds_read_b32 v8, v0
	v_sub_u32_e32 v13, 0, v6
	v_cmp_ne_u32_e64 s[0:1], 0, v5
                                        ; implicit-def: $vgpr15
                                        ; implicit-def: $vgpr14
                                        ; implicit-def: $vgpr11_vgpr12
	s_and_saveexec_b64 s[4:5], s[0:1]
	s_xor_b64 s[4:5], exec, s[4:5]
	s_cbranch_execz .LBB0_25
; %bb.24:
	v_mov_b32_e32 v6, 0
	v_lshlrev_b64 v[10:11], 2, v[5:6]
	v_mov_b32_e32 v12, s13
	v_add_co_u32_e64 v10, s[0:1], s12, v10
	v_addc_co_u32_e64 v11, s[0:1], v12, v11, s[0:1]
	global_load_dword v10, v[10:11], off offset:2096
	ds_read_b32 v11, v13 offset:2112
	s_waitcnt lgkmcnt(0)
	v_add_f16_sdwa v14, v11, v8 dst_sel:DWORD dst_unused:UNUSED_PAD src0_sel:WORD_1 src1_sel:WORD_1
	v_sub_f16_e32 v15, v8, v11
	v_add_f16_e32 v12, v11, v8
	v_sub_f16_sdwa v8, v8, v11 dst_sel:DWORD dst_unused:UNUSED_PAD src0_sel:WORD_1 src1_sel:WORD_1
	v_mul_f16_e32 v11, 0.5, v14
	v_mul_f16_e32 v14, 0.5, v15
	;; [unrolled: 1-line block ×3, first 2 shown]
	s_waitcnt vmcnt(0)
	v_lshrrev_b32_e32 v15, 16, v10
	v_mul_f16_e32 v16, v15, v14
	v_fma_f16 v17, v11, v15, v8
	v_fma_f16 v8, v11, v15, -v8
	v_fma_f16 v15, v12, 0.5, v16
	v_fma_f16 v12, v12, 0.5, -v16
	v_fma_f16 v17, -v10, v14, v17
	v_fma_f16 v8, -v10, v14, v8
	v_fma_f16 v14, v10, v11, v15
	v_fma_f16 v15, -v10, v11, v12
	v_mov_b32_e32 v12, v6
	ds_write_b16 v0, v17 offset:2
	ds_write_b16 v13, v8 offset:2114
	v_mov_b32_e32 v11, v5
                                        ; implicit-def: $vgpr8
.LBB0_25:
	s_andn2_saveexec_b64 s[0:1], s[4:5]
	s_cbranch_execz .LBB0_27
; %bb.26:
	v_mov_b32_e32 v6, 0
	ds_write_b16 v0, v6 offset:2
	ds_write_b16 v13, v6 offset:2114
	ds_read_u16 v10, v6 offset:1058
	v_mov_b32_e32 v11, 0
	s_waitcnt lgkmcnt(3)
	v_add_f16_sdwa v14, v8, v8 dst_sel:DWORD dst_unused:UNUSED_PAD src0_sel:WORD_1 src1_sel:DWORD
	v_sub_f16_sdwa v15, v8, v8 dst_sel:DWORD dst_unused:UNUSED_PAD src0_sel:DWORD src1_sel:WORD_1
	v_mov_b32_e32 v12, 0
	s_waitcnt lgkmcnt(0)
	v_xor_b32_e32 v8, 0x8000, v10
	ds_write_b16 v6, v8 offset:1058
.LBB0_27:
	s_or_b64 exec, exec, s[0:1]
	s_waitcnt lgkmcnt(0)
	v_mov_b32_e32 v8, 0
	v_lshlrev_b64 v[6:7], 2, v[7:8]
	v_mov_b32_e32 v10, s13
	v_add_co_u32_e64 v6, s[0:1], s12, v6
	v_addc_co_u32_e64 v7, s[0:1], v10, v7, s[0:1]
	global_load_dword v16, v[6:7], off offset:2096
	v_mov_b32_e32 v10, v8
	v_lshlrev_b64 v[6:7], 2, v[9:10]
	v_mov_b32_e32 v17, s13
	v_add_co_u32_e64 v6, s[0:1], s12, v6
	v_addc_co_u32_e64 v7, s[0:1], v17, v7, s[0:1]
	global_load_dword v8, v[6:7], off offset:2096
	s_add_u32 s0, s12, 0x830
	v_lshlrev_b64 v[6:7], 2, v[11:12]
	s_addc_u32 s1, s13, 0
	v_mov_b32_e32 v9, s1
	v_add_co_u32_e64 v6, s[0:1], s0, v6
	v_addc_co_u32_e64 v7, s[0:1], v9, v7, s[0:1]
	global_load_dword v9, v[6:7], off offset:576
	ds_write_b16 v0, v14
	ds_write_b16 v13, v15 offset:2112
	ds_read_b32 v10, v21
	ds_read_b32 v11, v13 offset:1920
	global_load_dword v12, v[6:7], off offset:768
	s_mov_b32 s6, 0xffff
	v_cmp_gt_u32_e64 s[0:1], 24, v5
	s_waitcnt lgkmcnt(0)
	v_pk_add_f16 v14, v10, v11 neg_lo:[0,1] neg_hi:[0,1]
	v_pk_add_f16 v10, v10, v11
	v_bfi_b32 v11, s6, v14, v10
	v_bfi_b32 v10, s6, v10, v14
	v_pk_mul_f16 v11, v11, 0.5 op_sel_hi:[1,0]
	v_pk_mul_f16 v10, v10, 0.5 op_sel_hi:[1,0]
	s_waitcnt vmcnt(3)
	v_pk_fma_f16 v14, v16, v11, v10 op_sel:[1,0,0]
	v_pk_mul_f16 v15, v16, v11 op_sel_hi:[0,1]
	v_pk_fma_f16 v17, v16, v11, v10 op_sel:[1,0,0] neg_lo:[1,0,0] neg_hi:[1,0,0]
	v_pk_fma_f16 v10, v16, v11, v10 op_sel:[1,0,0] neg_lo:[0,0,1] neg_hi:[0,0,1]
	v_pk_add_f16 v11, v14, v15 op_sel:[0,1] op_sel_hi:[1,0]
	v_pk_add_f16 v14, v14, v15 op_sel:[0,1] op_sel_hi:[1,0] neg_lo:[0,1] neg_hi:[0,1]
	v_pk_add_f16 v16, v17, v15 op_sel:[0,1] op_sel_hi:[1,0] neg_lo:[0,1] neg_hi:[0,1]
	;; [unrolled: 1-line block ×3, first 2 shown]
	v_bfi_b32 v11, s6, v11, v14
	v_bfi_b32 v10, s6, v16, v10
	ds_write_b32 v21, v11
	ds_write_b32 v13, v10 offset:1920
	ds_read_b32 v10, v20
	ds_read_b32 v11, v13 offset:1728
	s_waitcnt lgkmcnt(0)
	v_pk_add_f16 v14, v10, v11 neg_lo:[0,1] neg_hi:[0,1]
	v_pk_add_f16 v10, v10, v11
	v_bfi_b32 v11, s6, v14, v10
	v_bfi_b32 v10, s6, v10, v14
	v_pk_mul_f16 v11, v11, 0.5 op_sel_hi:[1,0]
	v_pk_mul_f16 v10, v10, 0.5 op_sel_hi:[1,0]
	s_waitcnt vmcnt(2)
	v_pk_fma_f16 v14, v8, v11, v10 op_sel:[1,0,0]
	v_pk_mul_f16 v15, v8, v11 op_sel_hi:[0,1]
	v_pk_fma_f16 v16, v8, v11, v10 op_sel:[1,0,0] neg_lo:[1,0,0] neg_hi:[1,0,0]
	v_pk_fma_f16 v8, v8, v11, v10 op_sel:[1,0,0] neg_lo:[0,0,1] neg_hi:[0,0,1]
	v_pk_add_f16 v10, v14, v15 op_sel:[0,1] op_sel_hi:[1,0]
	v_pk_add_f16 v11, v14, v15 op_sel:[0,1] op_sel_hi:[1,0] neg_lo:[0,1] neg_hi:[0,1]
	v_pk_add_f16 v14, v16, v15 op_sel:[0,1] op_sel_hi:[1,0] neg_lo:[0,1] neg_hi:[0,1]
	;; [unrolled: 1-line block ×3, first 2 shown]
	v_bfi_b32 v10, s6, v10, v11
	v_bfi_b32 v8, s6, v14, v8
	ds_write_b32 v20, v10
	ds_write_b32 v13, v8 offset:1728
	ds_read_b32 v8, v0 offset:576
	ds_read_b32 v10, v13 offset:1536
	s_waitcnt lgkmcnt(0)
	v_pk_add_f16 v11, v8, v10 neg_lo:[0,1] neg_hi:[0,1]
	v_pk_add_f16 v8, v8, v10
	v_bfi_b32 v10, s6, v11, v8
	v_bfi_b32 v8, s6, v8, v11
	v_pk_mul_f16 v10, v10, 0.5 op_sel_hi:[1,0]
	v_pk_mul_f16 v8, v8, 0.5 op_sel_hi:[1,0]
	s_waitcnt vmcnt(1)
	v_pk_fma_f16 v11, v9, v10, v8 op_sel:[1,0,0]
	v_pk_mul_f16 v14, v9, v10 op_sel_hi:[0,1]
	v_pk_fma_f16 v15, v9, v10, v8 op_sel:[1,0,0] neg_lo:[1,0,0] neg_hi:[1,0,0]
	v_pk_fma_f16 v8, v9, v10, v8 op_sel:[1,0,0] neg_lo:[0,0,1] neg_hi:[0,0,1]
	v_pk_add_f16 v9, v11, v14 op_sel:[0,1] op_sel_hi:[1,0]
	v_pk_add_f16 v10, v11, v14 op_sel:[0,1] op_sel_hi:[1,0] neg_lo:[0,1] neg_hi:[0,1]
	v_pk_add_f16 v11, v15, v14 op_sel:[0,1] op_sel_hi:[1,0] neg_lo:[0,1] neg_hi:[0,1]
	;; [unrolled: 1-line block ×3, first 2 shown]
	v_bfi_b32 v9, s6, v9, v10
	v_bfi_b32 v8, s6, v11, v8
	ds_write_b32 v0, v9 offset:576
	ds_write_b32 v13, v8 offset:1536
	ds_read_b32 v8, v0 offset:768
	ds_read_b32 v9, v13 offset:1344
	s_waitcnt lgkmcnt(0)
	v_pk_add_f16 v10, v8, v9 neg_lo:[0,1] neg_hi:[0,1]
	v_pk_add_f16 v8, v8, v9
	v_bfi_b32 v9, s6, v10, v8
	v_bfi_b32 v8, s6, v8, v10
	v_pk_mul_f16 v9, v9, 0.5 op_sel_hi:[1,0]
	v_pk_mul_f16 v8, v8, 0.5 op_sel_hi:[1,0]
	s_waitcnt vmcnt(0)
	v_pk_fma_f16 v10, v12, v9, v8 op_sel:[1,0,0]
	v_pk_mul_f16 v11, v12, v9 op_sel_hi:[0,1]
	v_pk_fma_f16 v14, v12, v9, v8 op_sel:[1,0,0] neg_lo:[1,0,0] neg_hi:[1,0,0]
	v_pk_fma_f16 v8, v12, v9, v8 op_sel:[1,0,0] neg_lo:[0,0,1] neg_hi:[0,0,1]
	v_pk_add_f16 v9, v10, v11 op_sel:[0,1] op_sel_hi:[1,0]
	v_pk_add_f16 v10, v10, v11 op_sel:[0,1] op_sel_hi:[1,0] neg_lo:[0,1] neg_hi:[0,1]
	v_pk_add_f16 v12, v14, v11 op_sel:[0,1] op_sel_hi:[1,0] neg_lo:[0,1] neg_hi:[0,1]
	;; [unrolled: 1-line block ×3, first 2 shown]
	v_bfi_b32 v9, s6, v9, v10
	v_bfi_b32 v8, s6, v12, v8
	ds_write_b32 v0, v9 offset:768
	ds_write_b32 v13, v8 offset:1344
	s_and_saveexec_b64 s[4:5], s[0:1]
	s_cbranch_execz .LBB0_29
; %bb.28:
	global_load_dword v6, v[6:7], off offset:960
	ds_read_b32 v7, v0 offset:960
	ds_read_b32 v8, v13 offset:1152
	s_waitcnt lgkmcnt(0)
	v_pk_add_f16 v9, v7, v8 neg_lo:[0,1] neg_hi:[0,1]
	v_pk_add_f16 v7, v7, v8
	v_bfi_b32 v8, s6, v9, v7
	v_bfi_b32 v7, s6, v7, v9
	v_pk_mul_f16 v8, v8, 0.5 op_sel_hi:[1,0]
	v_pk_mul_f16 v7, v7, 0.5 op_sel_hi:[1,0]
	s_waitcnt vmcnt(0)
	v_pk_fma_f16 v9, v6, v8, v7 op_sel:[1,0,0]
	v_pk_mul_f16 v10, v6, v8 op_sel_hi:[0,1]
	v_pk_fma_f16 v11, v6, v8, v7 op_sel:[1,0,0] neg_lo:[1,0,0] neg_hi:[1,0,0]
	v_pk_fma_f16 v6, v6, v8, v7 op_sel:[1,0,0] neg_lo:[0,0,1] neg_hi:[0,0,1]
	v_pk_add_f16 v7, v9, v10 op_sel:[0,1] op_sel_hi:[1,0]
	v_pk_add_f16 v8, v9, v10 op_sel:[0,1] op_sel_hi:[1,0] neg_lo:[0,1] neg_hi:[0,1]
	v_pk_add_f16 v9, v11, v10 op_sel:[0,1] op_sel_hi:[1,0] neg_lo:[0,1] neg_hi:[0,1]
	;; [unrolled: 1-line block ×3, first 2 shown]
	v_bfi_b32 v7, s6, v7, v8
	v_bfi_b32 v6, s6, v9, v6
	ds_write_b32 v0, v7 offset:960
	ds_write_b32 v13, v6 offset:1152
.LBB0_29:
	s_or_b64 exec, exec, s[4:5]
	s_waitcnt lgkmcnt(0)
	; wave barrier
	s_waitcnt lgkmcnt(0)
	s_and_saveexec_b64 s[0:1], vcc
	s_cbranch_execz .LBB0_32
; %bb.30:
	v_mul_lo_u32 v0, s3, v3
	v_mul_lo_u32 v6, s2, v4
	v_mad_u64_u32 v[3:4], s[0:1], s2, v3, 0
	v_lshl_add_u32 v9, v5, 2, 0
	ds_read2_b32 v[7:8], v9 offset1:48
	v_add3_u32 v4, v4, v6, v0
	v_lshlrev_b64 v[3:4], 2, v[3:4]
	v_mov_b32_e32 v0, s11
	v_add_co_u32_e32 v3, vcc, s10, v3
	v_addc_co_u32_e32 v4, vcc, v0, v4, vcc
	v_lshlrev_b64 v[0:1], 2, v[1:2]
	v_mov_b32_e32 v6, 0
	v_add_co_u32_e32 v0, vcc, v3, v0
	v_lshlrev_b64 v[2:3], 2, v[5:6]
	v_addc_co_u32_e32 v1, vcc, v4, v1, vcc
	v_add_co_u32_e32 v2, vcc, v0, v2
	v_addc_co_u32_e32 v3, vcc, v1, v3, vcc
	s_waitcnt lgkmcnt(0)
	global_store_dword v[2:3], v7, off
	v_add_u32_e32 v2, 48, v5
	v_mov_b32_e32 v3, v6
	v_lshlrev_b64 v[2:3], 2, v[2:3]
	v_add_u32_e32 v4, 0x400, v9
	v_add_co_u32_e32 v2, vcc, v0, v2
	v_addc_co_u32_e32 v3, vcc, v1, v3, vcc
	global_store_dword v[2:3], v8, off
	v_add_u32_e32 v2, 0x60, v5
	v_mov_b32_e32 v3, v6
	ds_read2_b32 v[7:8], v9 offset0:96 offset1:144
	v_lshlrev_b64 v[2:3], 2, v[2:3]
	v_add_co_u32_e32 v2, vcc, v0, v2
	v_addc_co_u32_e32 v3, vcc, v1, v3, vcc
	s_waitcnt lgkmcnt(0)
	global_store_dword v[2:3], v7, off
	v_add_u32_e32 v2, 0x90, v5
	v_mov_b32_e32 v3, v6
	v_lshlrev_b64 v[2:3], 2, v[2:3]
	v_add_co_u32_e32 v2, vcc, v0, v2
	v_addc_co_u32_e32 v3, vcc, v1, v3, vcc
	global_store_dword v[2:3], v8, off
	v_add_u32_e32 v2, 0xc0, v5
	v_mov_b32_e32 v3, v6
	ds_read2_b32 v[7:8], v9 offset0:192 offset1:240
	v_lshlrev_b64 v[2:3], 2, v[2:3]
	v_add_co_u32_e32 v2, vcc, v0, v2
	v_addc_co_u32_e32 v3, vcc, v1, v3, vcc
	s_waitcnt lgkmcnt(0)
	global_store_dword v[2:3], v7, off
	v_add_u32_e32 v2, 0xf0, v5
	v_mov_b32_e32 v3, v6
	v_lshlrev_b64 v[2:3], 2, v[2:3]
	;; [unrolled: 14-line block ×3, first 2 shown]
	v_add_co_u32_e32 v2, vcc, v0, v2
	v_addc_co_u32_e32 v3, vcc, v1, v3, vcc
	global_store_dword v[2:3], v8, off
	v_add_u32_e32 v2, 0x180, v5
	v_mov_b32_e32 v3, v6
	ds_read2_b32 v[7:8], v4 offset0:128 offset1:176
	v_lshlrev_b64 v[2:3], 2, v[2:3]
	ds_read_b32 v4, v9 offset:1920
	v_add_co_u32_e32 v2, vcc, v0, v2
	v_addc_co_u32_e32 v3, vcc, v1, v3, vcc
	s_waitcnt lgkmcnt(1)
	global_store_dword v[2:3], v7, off
	v_add_u32_e32 v2, 0x1b0, v5
	v_mov_b32_e32 v3, v6
	v_lshlrev_b64 v[2:3], 2, v[2:3]
	v_add_co_u32_e32 v2, vcc, v0, v2
	v_addc_co_u32_e32 v3, vcc, v1, v3, vcc
	global_store_dword v[2:3], v8, off
	v_add_u32_e32 v2, 0x1e0, v5
	v_mov_b32_e32 v3, v6
	v_lshlrev_b64 v[2:3], 2, v[2:3]
	v_add_co_u32_e32 v2, vcc, v0, v2
	v_addc_co_u32_e32 v3, vcc, v1, v3, vcc
	v_cmp_eq_u32_e32 vcc, 47, v5
	s_waitcnt lgkmcnt(0)
	global_store_dword v[2:3], v4, off
	s_and_b64 exec, exec, vcc
	s_cbranch_execz .LBB0_32
; %bb.31:
	ds_read_b32 v2, v6 offset:2112
	s_waitcnt lgkmcnt(0)
	global_store_dword v[0:1], v2, off offset:2112
.LBB0_32:
	s_endpgm
	.section	.rodata,"a",@progbits
	.p2align	6, 0x0
	.amdhsa_kernel fft_rtc_fwd_len528_factors_4_4_3_11_wgs_48_tpt_48_halfLds_half_op_CI_CI_unitstride_sbrr_R2C_dirReg
		.amdhsa_group_segment_fixed_size 0
		.amdhsa_private_segment_fixed_size 0
		.amdhsa_kernarg_size 104
		.amdhsa_user_sgpr_count 6
		.amdhsa_user_sgpr_private_segment_buffer 1
		.amdhsa_user_sgpr_dispatch_ptr 0
		.amdhsa_user_sgpr_queue_ptr 0
		.amdhsa_user_sgpr_kernarg_segment_ptr 1
		.amdhsa_user_sgpr_dispatch_id 0
		.amdhsa_user_sgpr_flat_scratch_init 0
		.amdhsa_user_sgpr_private_segment_size 0
		.amdhsa_uses_dynamic_stack 0
		.amdhsa_system_sgpr_private_segment_wavefront_offset 0
		.amdhsa_system_sgpr_workgroup_id_x 1
		.amdhsa_system_sgpr_workgroup_id_y 0
		.amdhsa_system_sgpr_workgroup_id_z 0
		.amdhsa_system_sgpr_workgroup_info 0
		.amdhsa_system_vgpr_workitem_id 0
		.amdhsa_next_free_vgpr 63
		.amdhsa_next_free_sgpr 28
		.amdhsa_reserve_vcc 1
		.amdhsa_reserve_flat_scratch 0
		.amdhsa_float_round_mode_32 0
		.amdhsa_float_round_mode_16_64 0
		.amdhsa_float_denorm_mode_32 3
		.amdhsa_float_denorm_mode_16_64 3
		.amdhsa_dx10_clamp 1
		.amdhsa_ieee_mode 1
		.amdhsa_fp16_overflow 0
		.amdhsa_exception_fp_ieee_invalid_op 0
		.amdhsa_exception_fp_denorm_src 0
		.amdhsa_exception_fp_ieee_div_zero 0
		.amdhsa_exception_fp_ieee_overflow 0
		.amdhsa_exception_fp_ieee_underflow 0
		.amdhsa_exception_fp_ieee_inexact 0
		.amdhsa_exception_int_div_zero 0
	.end_amdhsa_kernel
	.text
.Lfunc_end0:
	.size	fft_rtc_fwd_len528_factors_4_4_3_11_wgs_48_tpt_48_halfLds_half_op_CI_CI_unitstride_sbrr_R2C_dirReg, .Lfunc_end0-fft_rtc_fwd_len528_factors_4_4_3_11_wgs_48_tpt_48_halfLds_half_op_CI_CI_unitstride_sbrr_R2C_dirReg
                                        ; -- End function
	.section	.AMDGPU.csdata,"",@progbits
; Kernel info:
; codeLenInByte = 8528
; NumSgprs: 32
; NumVgprs: 63
; ScratchSize: 0
; MemoryBound: 0
; FloatMode: 240
; IeeeMode: 1
; LDSByteSize: 0 bytes/workgroup (compile time only)
; SGPRBlocks: 3
; VGPRBlocks: 15
; NumSGPRsForWavesPerEU: 32
; NumVGPRsForWavesPerEU: 63
; Occupancy: 4
; WaveLimiterHint : 1
; COMPUTE_PGM_RSRC2:SCRATCH_EN: 0
; COMPUTE_PGM_RSRC2:USER_SGPR: 6
; COMPUTE_PGM_RSRC2:TRAP_HANDLER: 0
; COMPUTE_PGM_RSRC2:TGID_X_EN: 1
; COMPUTE_PGM_RSRC2:TGID_Y_EN: 0
; COMPUTE_PGM_RSRC2:TGID_Z_EN: 0
; COMPUTE_PGM_RSRC2:TIDIG_COMP_CNT: 0
	.type	__hip_cuid_408dd126113b0ce4,@object ; @__hip_cuid_408dd126113b0ce4
	.section	.bss,"aw",@nobits
	.globl	__hip_cuid_408dd126113b0ce4
__hip_cuid_408dd126113b0ce4:
	.byte	0                               ; 0x0
	.size	__hip_cuid_408dd126113b0ce4, 1

	.ident	"AMD clang version 19.0.0git (https://github.com/RadeonOpenCompute/llvm-project roc-6.4.0 25133 c7fe45cf4b819c5991fe208aaa96edf142730f1d)"
	.section	".note.GNU-stack","",@progbits
	.addrsig
	.addrsig_sym __hip_cuid_408dd126113b0ce4
	.amdgpu_metadata
---
amdhsa.kernels:
  - .args:
      - .actual_access:  read_only
        .address_space:  global
        .offset:         0
        .size:           8
        .value_kind:     global_buffer
      - .offset:         8
        .size:           8
        .value_kind:     by_value
      - .actual_access:  read_only
        .address_space:  global
        .offset:         16
        .size:           8
        .value_kind:     global_buffer
      - .actual_access:  read_only
        .address_space:  global
        .offset:         24
        .size:           8
        .value_kind:     global_buffer
      - .actual_access:  read_only
        .address_space:  global
        .offset:         32
        .size:           8
        .value_kind:     global_buffer
      - .offset:         40
        .size:           8
        .value_kind:     by_value
      - .actual_access:  read_only
        .address_space:  global
        .offset:         48
        .size:           8
        .value_kind:     global_buffer
      - .actual_access:  read_only
        .address_space:  global
        .offset:         56
        .size:           8
        .value_kind:     global_buffer
      - .offset:         64
        .size:           4
        .value_kind:     by_value
      - .actual_access:  read_only
        .address_space:  global
        .offset:         72
        .size:           8
        .value_kind:     global_buffer
      - .actual_access:  read_only
        .address_space:  global
        .offset:         80
        .size:           8
        .value_kind:     global_buffer
      - .actual_access:  read_only
        .address_space:  global
        .offset:         88
        .size:           8
        .value_kind:     global_buffer
      - .actual_access:  write_only
        .address_space:  global
        .offset:         96
        .size:           8
        .value_kind:     global_buffer
    .group_segment_fixed_size: 0
    .kernarg_segment_align: 8
    .kernarg_segment_size: 104
    .language:       OpenCL C
    .language_version:
      - 2
      - 0
    .max_flat_workgroup_size: 48
    .name:           fft_rtc_fwd_len528_factors_4_4_3_11_wgs_48_tpt_48_halfLds_half_op_CI_CI_unitstride_sbrr_R2C_dirReg
    .private_segment_fixed_size: 0
    .sgpr_count:     32
    .sgpr_spill_count: 0
    .symbol:         fft_rtc_fwd_len528_factors_4_4_3_11_wgs_48_tpt_48_halfLds_half_op_CI_CI_unitstride_sbrr_R2C_dirReg.kd
    .uniform_work_group_size: 1
    .uses_dynamic_stack: false
    .vgpr_count:     63
    .vgpr_spill_count: 0
    .wavefront_size: 64
amdhsa.target:   amdgcn-amd-amdhsa--gfx906
amdhsa.version:
  - 1
  - 2
...

	.end_amdgpu_metadata
